;; amdgpu-corpus repo=ROCm/rocFFT kind=compiled arch=gfx1201 opt=O3
	.text
	.amdgcn_target "amdgcn-amd-amdhsa--gfx1201"
	.amdhsa_code_object_version 6
	.protected	fft_rtc_fwd_len960_factors_16_10_6_wgs_160_tpt_160_sp_op_CI_CI_unitstride_sbrr_C2R_dirReg ; -- Begin function fft_rtc_fwd_len960_factors_16_10_6_wgs_160_tpt_160_sp_op_CI_CI_unitstride_sbrr_C2R_dirReg
	.globl	fft_rtc_fwd_len960_factors_16_10_6_wgs_160_tpt_160_sp_op_CI_CI_unitstride_sbrr_C2R_dirReg
	.p2align	8
	.type	fft_rtc_fwd_len960_factors_16_10_6_wgs_160_tpt_160_sp_op_CI_CI_unitstride_sbrr_C2R_dirReg,@function
fft_rtc_fwd_len960_factors_16_10_6_wgs_160_tpt_160_sp_op_CI_CI_unitstride_sbrr_C2R_dirReg: ; @fft_rtc_fwd_len960_factors_16_10_6_wgs_160_tpt_160_sp_op_CI_CI_unitstride_sbrr_C2R_dirReg
; %bb.0:
	s_clause 0x2
	s_load_b128 s[8:11], s[0:1], 0x0
	s_load_b128 s[4:7], s[0:1], 0x58
	;; [unrolled: 1-line block ×3, first 2 shown]
	v_mul_u32_u24_e32 v1, 0x19a, v0
	v_mov_b32_e32 v3, 0
	s_delay_alu instid0(VALU_DEP_2) | instskip(NEXT) | instid1(VALU_DEP_1)
	v_lshrrev_b32_e32 v1, 16, v1
	v_add_nc_u32_e32 v5, ttmp9, v1
	v_mov_b32_e32 v1, 0
	v_mov_b32_e32 v2, 0
	;; [unrolled: 1-line block ×3, first 2 shown]
	s_wait_kmcnt 0x0
	v_cmp_lt_u64_e64 s2, s[10:11], 2
	s_delay_alu instid0(VALU_DEP_1)
	s_and_b32 vcc_lo, exec_lo, s2
	s_cbranch_vccnz .LBB0_8
; %bb.1:
	s_load_b64 s[2:3], s[0:1], 0x10
	v_mov_b32_e32 v1, 0
	v_mov_b32_e32 v2, 0
	s_add_nc_u64 s[16:17], s[14:15], 8
	s_add_nc_u64 s[18:19], s[12:13], 8
	s_mov_b64 s[20:21], 1
	s_delay_alu instid0(VALU_DEP_1)
	v_dual_mov_b32 v21, v2 :: v_dual_mov_b32 v20, v1
	s_wait_kmcnt 0x0
	s_add_nc_u64 s[22:23], s[2:3], 8
	s_mov_b32 s3, 0
.LBB0_2:                                ; =>This Inner Loop Header: Depth=1
	s_load_b64 s[24:25], s[22:23], 0x0
                                        ; implicit-def: $vgpr22_vgpr23
	s_mov_b32 s2, exec_lo
	s_wait_kmcnt 0x0
	v_or_b32_e32 v4, s25, v6
	s_delay_alu instid0(VALU_DEP_1)
	v_cmpx_ne_u64_e32 0, v[3:4]
	s_wait_alu 0xfffe
	s_xor_b32 s26, exec_lo, s2
	s_cbranch_execz .LBB0_4
; %bb.3:                                ;   in Loop: Header=BB0_2 Depth=1
	s_cvt_f32_u32 s2, s24
	s_cvt_f32_u32 s27, s25
	s_sub_nc_u64 s[30:31], 0, s[24:25]
	s_wait_alu 0xfffe
	s_delay_alu instid0(SALU_CYCLE_1) | instskip(SKIP_1) | instid1(SALU_CYCLE_2)
	s_fmamk_f32 s2, s27, 0x4f800000, s2
	s_wait_alu 0xfffe
	v_s_rcp_f32 s2, s2
	s_delay_alu instid0(TRANS32_DEP_1) | instskip(SKIP_1) | instid1(SALU_CYCLE_2)
	s_mul_f32 s2, s2, 0x5f7ffffc
	s_wait_alu 0xfffe
	s_mul_f32 s27, s2, 0x2f800000
	s_wait_alu 0xfffe
	s_delay_alu instid0(SALU_CYCLE_2) | instskip(SKIP_1) | instid1(SALU_CYCLE_2)
	s_trunc_f32 s27, s27
	s_wait_alu 0xfffe
	s_fmamk_f32 s2, s27, 0xcf800000, s2
	s_cvt_u32_f32 s29, s27
	s_wait_alu 0xfffe
	s_delay_alu instid0(SALU_CYCLE_1) | instskip(SKIP_1) | instid1(SALU_CYCLE_2)
	s_cvt_u32_f32 s28, s2
	s_wait_alu 0xfffe
	s_mul_u64 s[34:35], s[30:31], s[28:29]
	s_wait_alu 0xfffe
	s_mul_hi_u32 s37, s28, s35
	s_mul_i32 s36, s28, s35
	s_mul_hi_u32 s2, s28, s34
	s_mul_i32 s33, s29, s34
	s_wait_alu 0xfffe
	s_add_nc_u64 s[36:37], s[2:3], s[36:37]
	s_mul_hi_u32 s27, s29, s34
	s_mul_hi_u32 s38, s29, s35
	s_add_co_u32 s2, s36, s33
	s_wait_alu 0xfffe
	s_add_co_ci_u32 s2, s37, s27
	s_mul_i32 s34, s29, s35
	s_add_co_ci_u32 s35, s38, 0
	s_wait_alu 0xfffe
	s_add_nc_u64 s[34:35], s[2:3], s[34:35]
	s_wait_alu 0xfffe
	v_add_co_u32 v4, s2, s28, s34
	s_delay_alu instid0(VALU_DEP_1) | instskip(SKIP_1) | instid1(VALU_DEP_1)
	s_cmp_lg_u32 s2, 0
	s_add_co_ci_u32 s29, s29, s35
	v_readfirstlane_b32 s28, v4
	s_wait_alu 0xfffe
	s_delay_alu instid0(VALU_DEP_1)
	s_mul_u64 s[30:31], s[30:31], s[28:29]
	s_wait_alu 0xfffe
	s_mul_hi_u32 s35, s28, s31
	s_mul_i32 s34, s28, s31
	s_mul_hi_u32 s2, s28, s30
	s_mul_i32 s33, s29, s30
	s_wait_alu 0xfffe
	s_add_nc_u64 s[34:35], s[2:3], s[34:35]
	s_mul_hi_u32 s27, s29, s30
	s_mul_hi_u32 s28, s29, s31
	s_wait_alu 0xfffe
	s_add_co_u32 s2, s34, s33
	s_add_co_ci_u32 s2, s35, s27
	s_mul_i32 s30, s29, s31
	s_add_co_ci_u32 s31, s28, 0
	s_wait_alu 0xfffe
	s_add_nc_u64 s[30:31], s[2:3], s[30:31]
	s_wait_alu 0xfffe
	v_add_co_u32 v4, s2, v4, s30
	s_delay_alu instid0(VALU_DEP_1) | instskip(SKIP_1) | instid1(VALU_DEP_1)
	s_cmp_lg_u32 s2, 0
	s_add_co_ci_u32 s2, s29, s31
	v_mul_hi_u32 v13, v5, v4
	s_wait_alu 0xfffe
	v_mad_co_u64_u32 v[7:8], null, v5, s2, 0
	v_mad_co_u64_u32 v[9:10], null, v6, v4, 0
	;; [unrolled: 1-line block ×3, first 2 shown]
	s_delay_alu instid0(VALU_DEP_3) | instskip(SKIP_1) | instid1(VALU_DEP_4)
	v_add_co_u32 v4, vcc_lo, v13, v7
	s_wait_alu 0xfffd
	v_add_co_ci_u32_e32 v7, vcc_lo, 0, v8, vcc_lo
	s_delay_alu instid0(VALU_DEP_2) | instskip(SKIP_1) | instid1(VALU_DEP_2)
	v_add_co_u32 v4, vcc_lo, v4, v9
	s_wait_alu 0xfffd
	v_add_co_ci_u32_e32 v4, vcc_lo, v7, v10, vcc_lo
	s_wait_alu 0xfffd
	v_add_co_ci_u32_e32 v7, vcc_lo, 0, v12, vcc_lo
	s_delay_alu instid0(VALU_DEP_2) | instskip(SKIP_1) | instid1(VALU_DEP_2)
	v_add_co_u32 v4, vcc_lo, v4, v11
	s_wait_alu 0xfffd
	v_add_co_ci_u32_e32 v9, vcc_lo, 0, v7, vcc_lo
	s_delay_alu instid0(VALU_DEP_2) | instskip(SKIP_1) | instid1(VALU_DEP_3)
	v_mul_lo_u32 v10, s25, v4
	v_mad_co_u64_u32 v[7:8], null, s24, v4, 0
	v_mul_lo_u32 v11, s24, v9
	s_delay_alu instid0(VALU_DEP_2) | instskip(NEXT) | instid1(VALU_DEP_2)
	v_sub_co_u32 v7, vcc_lo, v5, v7
	v_add3_u32 v8, v8, v11, v10
	s_delay_alu instid0(VALU_DEP_1) | instskip(SKIP_1) | instid1(VALU_DEP_1)
	v_sub_nc_u32_e32 v10, v6, v8
	s_wait_alu 0xfffd
	v_subrev_co_ci_u32_e64 v10, s2, s25, v10, vcc_lo
	v_add_co_u32 v11, s2, v4, 2
	s_wait_alu 0xf1ff
	v_add_co_ci_u32_e64 v12, s2, 0, v9, s2
	v_sub_co_u32 v13, s2, v7, s24
	v_sub_co_ci_u32_e32 v8, vcc_lo, v6, v8, vcc_lo
	s_wait_alu 0xf1ff
	v_subrev_co_ci_u32_e64 v10, s2, 0, v10, s2
	s_delay_alu instid0(VALU_DEP_3) | instskip(NEXT) | instid1(VALU_DEP_3)
	v_cmp_le_u32_e32 vcc_lo, s24, v13
	v_cmp_eq_u32_e64 s2, s25, v8
	s_wait_alu 0xfffd
	v_cndmask_b32_e64 v13, 0, -1, vcc_lo
	v_cmp_le_u32_e32 vcc_lo, s25, v10
	s_wait_alu 0xfffd
	v_cndmask_b32_e64 v14, 0, -1, vcc_lo
	v_cmp_le_u32_e32 vcc_lo, s24, v7
	;; [unrolled: 3-line block ×3, first 2 shown]
	s_wait_alu 0xfffd
	v_cndmask_b32_e64 v15, 0, -1, vcc_lo
	v_cmp_eq_u32_e32 vcc_lo, s25, v10
	s_wait_alu 0xf1ff
	s_delay_alu instid0(VALU_DEP_2)
	v_cndmask_b32_e64 v7, v15, v7, s2
	s_wait_alu 0xfffd
	v_cndmask_b32_e32 v10, v14, v13, vcc_lo
	v_add_co_u32 v13, vcc_lo, v4, 1
	s_wait_alu 0xfffd
	v_add_co_ci_u32_e32 v14, vcc_lo, 0, v9, vcc_lo
	s_delay_alu instid0(VALU_DEP_3) | instskip(SKIP_1) | instid1(VALU_DEP_2)
	v_cmp_ne_u32_e32 vcc_lo, 0, v10
	s_wait_alu 0xfffd
	v_cndmask_b32_e32 v8, v14, v12, vcc_lo
	v_cndmask_b32_e32 v10, v13, v11, vcc_lo
	v_cmp_ne_u32_e32 vcc_lo, 0, v7
	s_wait_alu 0xfffd
	s_delay_alu instid0(VALU_DEP_2)
	v_dual_cndmask_b32 v23, v9, v8 :: v_dual_cndmask_b32 v22, v4, v10
.LBB0_4:                                ;   in Loop: Header=BB0_2 Depth=1
	s_wait_alu 0xfffe
	s_and_not1_saveexec_b32 s2, s26
	s_cbranch_execz .LBB0_6
; %bb.5:                                ;   in Loop: Header=BB0_2 Depth=1
	v_cvt_f32_u32_e32 v4, s24
	s_sub_co_i32 s26, 0, s24
	v_mov_b32_e32 v23, v3
	s_delay_alu instid0(VALU_DEP_2) | instskip(NEXT) | instid1(TRANS32_DEP_1)
	v_rcp_iflag_f32_e32 v4, v4
	v_mul_f32_e32 v4, 0x4f7ffffe, v4
	s_delay_alu instid0(VALU_DEP_1) | instskip(SKIP_1) | instid1(VALU_DEP_1)
	v_cvt_u32_f32_e32 v4, v4
	s_wait_alu 0xfffe
	v_mul_lo_u32 v7, s26, v4
	s_delay_alu instid0(VALU_DEP_1) | instskip(NEXT) | instid1(VALU_DEP_1)
	v_mul_hi_u32 v7, v4, v7
	v_add_nc_u32_e32 v4, v4, v7
	s_delay_alu instid0(VALU_DEP_1) | instskip(NEXT) | instid1(VALU_DEP_1)
	v_mul_hi_u32 v4, v5, v4
	v_mul_lo_u32 v7, v4, s24
	v_add_nc_u32_e32 v8, 1, v4
	s_delay_alu instid0(VALU_DEP_2) | instskip(NEXT) | instid1(VALU_DEP_1)
	v_sub_nc_u32_e32 v7, v5, v7
	v_subrev_nc_u32_e32 v9, s24, v7
	v_cmp_le_u32_e32 vcc_lo, s24, v7
	s_wait_alu 0xfffd
	s_delay_alu instid0(VALU_DEP_2) | instskip(NEXT) | instid1(VALU_DEP_1)
	v_dual_cndmask_b32 v7, v7, v9 :: v_dual_cndmask_b32 v4, v4, v8
	v_cmp_le_u32_e32 vcc_lo, s24, v7
	s_delay_alu instid0(VALU_DEP_2) | instskip(SKIP_1) | instid1(VALU_DEP_1)
	v_add_nc_u32_e32 v8, 1, v4
	s_wait_alu 0xfffd
	v_cndmask_b32_e32 v22, v4, v8, vcc_lo
.LBB0_6:                                ;   in Loop: Header=BB0_2 Depth=1
	s_wait_alu 0xfffe
	s_or_b32 exec_lo, exec_lo, s2
	v_mul_lo_u32 v4, v23, s24
	s_delay_alu instid0(VALU_DEP_2)
	v_mul_lo_u32 v9, v22, s25
	s_load_b64 s[26:27], s[18:19], 0x0
	v_mad_co_u64_u32 v[7:8], null, v22, s24, 0
	s_load_b64 s[24:25], s[16:17], 0x0
	s_add_nc_u64 s[20:21], s[20:21], 1
	s_add_nc_u64 s[16:17], s[16:17], 8
	s_wait_alu 0xfffe
	v_cmp_ge_u64_e64 s2, s[20:21], s[10:11]
	s_add_nc_u64 s[18:19], s[18:19], 8
	s_add_nc_u64 s[22:23], s[22:23], 8
	v_add3_u32 v4, v8, v9, v4
	v_sub_co_u32 v5, vcc_lo, v5, v7
	s_wait_alu 0xfffd
	s_delay_alu instid0(VALU_DEP_2) | instskip(SKIP_2) | instid1(VALU_DEP_1)
	v_sub_co_ci_u32_e32 v4, vcc_lo, v6, v4, vcc_lo
	s_and_b32 vcc_lo, exec_lo, s2
	s_wait_kmcnt 0x0
	v_mul_lo_u32 v6, s26, v4
	v_mul_lo_u32 v7, s27, v5
	v_mad_co_u64_u32 v[1:2], null, s26, v5, v[1:2]
	v_mul_lo_u32 v4, s24, v4
	v_mul_lo_u32 v8, s25, v5
	v_mad_co_u64_u32 v[20:21], null, s24, v5, v[20:21]
	s_delay_alu instid0(VALU_DEP_4) | instskip(NEXT) | instid1(VALU_DEP_2)
	v_add3_u32 v2, v7, v2, v6
	v_add3_u32 v21, v8, v21, v4
	s_wait_alu 0xfffe
	s_cbranch_vccnz .LBB0_9
; %bb.7:                                ;   in Loop: Header=BB0_2 Depth=1
	v_dual_mov_b32 v5, v22 :: v_dual_mov_b32 v6, v23
	s_branch .LBB0_2
.LBB0_8:
	v_dual_mov_b32 v21, v2 :: v_dual_mov_b32 v20, v1
	v_dual_mov_b32 v23, v6 :: v_dual_mov_b32 v22, v5
.LBB0_9:
	s_load_b64 s[0:1], s[0:1], 0x28
	v_mul_hi_u32 v3, 0x199999a, v0
	s_lshl_b64 s[10:11], s[10:11], 3
                                        ; implicit-def: $vgpr24
	s_wait_alu 0xfffe
	s_add_nc_u64 s[2:3], s[14:15], s[10:11]
	s_wait_kmcnt 0x0
	v_cmp_gt_u64_e32 vcc_lo, s[0:1], v[22:23]
	v_cmp_le_u64_e64 s0, s[0:1], v[22:23]
	s_delay_alu instid0(VALU_DEP_1)
	s_and_saveexec_b32 s1, s0
	s_wait_alu 0xfffe
	s_xor_b32 s0, exec_lo, s1
; %bb.10:
	v_mul_u32_u24_e32 v1, 0xa0, v3
                                        ; implicit-def: $vgpr3
	s_delay_alu instid0(VALU_DEP_1)
	v_sub_nc_u32_e32 v24, v0, v1
                                        ; implicit-def: $vgpr0
                                        ; implicit-def: $vgpr1_vgpr2
; %bb.11:
	s_wait_alu 0xfffe
	s_or_saveexec_b32 s1, s0
	s_load_b64 s[2:3], s[2:3], 0x0
	s_xor_b32 exec_lo, exec_lo, s1
	s_cbranch_execz .LBB0_15
; %bb.12:
	s_add_nc_u64 s[10:11], s[12:13], s[10:11]
	v_lshlrev_b64_e32 v[1:2], 3, v[1:2]
	s_load_b64 s[10:11], s[10:11], 0x0
	s_wait_kmcnt 0x0
	v_mul_lo_u32 v6, s11, v22
	v_mul_lo_u32 v7, s10, v23
	v_mad_co_u64_u32 v[4:5], null, s10, v22, 0
	s_delay_alu instid0(VALU_DEP_1) | instskip(SKIP_1) | instid1(VALU_DEP_2)
	v_add3_u32 v5, v5, v7, v6
	v_mul_u32_u24_e32 v6, 0xa0, v3
	v_lshlrev_b64_e32 v[3:4], 3, v[4:5]
	s_delay_alu instid0(VALU_DEP_2) | instskip(NEXT) | instid1(VALU_DEP_1)
	v_sub_nc_u32_e32 v24, v0, v6
	v_lshlrev_b32_e32 v14, 3, v24
	s_delay_alu instid0(VALU_DEP_3) | instskip(SKIP_1) | instid1(VALU_DEP_4)
	v_add_co_u32 v0, s0, s4, v3
	s_wait_alu 0xf1ff
	v_add_co_ci_u32_e64 v3, s0, s5, v4, s0
	s_mov_b32 s4, exec_lo
	s_delay_alu instid0(VALU_DEP_2) | instskip(SKIP_1) | instid1(VALU_DEP_2)
	v_add_co_u32 v0, s0, v0, v1
	s_wait_alu 0xf1ff
	v_add_co_ci_u32_e64 v1, s0, v3, v2, s0
	s_delay_alu instid0(VALU_DEP_2) | instskip(SKIP_1) | instid1(VALU_DEP_2)
	v_add_co_u32 v2, s0, v0, v14
	s_wait_alu 0xf1ff
	v_add_co_ci_u32_e64 v3, s0, 0, v1, s0
	s_clause 0x5
	global_load_b64 v[4:5], v[2:3], off
	global_load_b64 v[6:7], v[2:3], off offset:1280
	global_load_b64 v[8:9], v[2:3], off offset:2560
	;; [unrolled: 1-line block ×5, first 2 shown]
	v_add_nc_u32_e32 v14, 0, v14
	s_delay_alu instid0(VALU_DEP_1)
	v_add_nc_u32_e32 v15, 0x800, v14
	v_add_nc_u32_e32 v16, 0x1400, v14
	s_wait_loadcnt 0x4
	ds_store_2addr_b64 v14, v[4:5], v[6:7] offset1:160
	s_wait_loadcnt 0x2
	ds_store_2addr_b64 v15, v[8:9], v[10:11] offset0:64 offset1:224
	s_wait_loadcnt 0x0
	ds_store_2addr_b64 v16, v[12:13], v[2:3] offset1:160
	v_cmpx_eq_u32_e32 0x9f, v24
	s_cbranch_execz .LBB0_14
; %bb.13:
	global_load_b64 v[0:1], v[0:1], off offset:7680
	v_mov_b32_e32 v2, 0
	v_mov_b32_e32 v24, 0x9f
	s_wait_loadcnt 0x0
	ds_store_b64 v2, v[0:1] offset:7680
.LBB0_14:
	s_wait_alu 0xfffe
	s_or_b32 exec_lo, exec_lo, s4
.LBB0_15:
	s_delay_alu instid0(SALU_CYCLE_1)
	s_or_b32 exec_lo, exec_lo, s1
	v_lshlrev_b32_e32 v0, 3, v24
	global_wb scope:SCOPE_SE
	s_wait_dscnt 0x0
	s_wait_kmcnt 0x0
	s_barrier_signal -1
	s_barrier_wait -1
	global_inv scope:SCOPE_SE
	v_add_nc_u32_e32 v37, 0, v0
	v_sub_nc_u32_e32 v4, 0, v0
	s_mov_b32 s1, exec_lo
                                        ; implicit-def: $vgpr2_vgpr3
	ds_load_b32 v5, v37
	ds_load_b32 v6, v4 offset:7680
	s_wait_dscnt 0x0
	v_dual_add_f32 v0, v6, v5 :: v_dual_sub_f32 v1, v5, v6
	v_cmpx_ne_u32_e32 0, v24
	s_wait_alu 0xfffe
	s_xor_b32 s1, exec_lo, s1
	s_cbranch_execz .LBB0_17
; %bb.16:
	v_dual_mov_b32 v25, 0 :: v_dual_sub_f32 v8, v5, v6
	s_delay_alu instid0(VALU_DEP_1) | instskip(NEXT) | instid1(VALU_DEP_1)
	v_lshlrev_b64_e32 v[0:1], 3, v[24:25]
	v_add_co_u32 v0, s0, s8, v0
	s_wait_alu 0xf1ff
	s_delay_alu instid0(VALU_DEP_2)
	v_add_co_ci_u32_e64 v1, s0, s9, v1, s0
	global_load_b64 v[2:3], v[0:1], off offset:7552
	ds_load_b32 v0, v4 offset:7684
	ds_load_b32 v1, v37 offset:4
	v_add_f32_e32 v7, v6, v5
	s_wait_dscnt 0x0
	v_dual_add_f32 v9, v0, v1 :: v_dual_sub_f32 v0, v1, v0
	s_wait_loadcnt 0x0
	s_delay_alu instid0(VALU_DEP_2) | instskip(NEXT) | instid1(VALU_DEP_2)
	v_fma_f32 v5, -v8, v3, v7
	v_fma_f32 v6, v9, v3, -v0
	v_fma_f32 v10, v8, v3, v7
	v_fma_f32 v1, v9, v3, v0
	s_delay_alu instid0(VALU_DEP_3) | instskip(NEXT) | instid1(VALU_DEP_3)
	v_dual_fmac_f32 v5, v2, v9 :: v_dual_fmac_f32 v6, v8, v2
	v_fma_f32 v0, -v2, v9, v10
	s_delay_alu instid0(VALU_DEP_3)
	v_fmac_f32_e32 v1, v8, v2
	v_dual_mov_b32 v2, v24 :: v_dual_mov_b32 v3, v25
	ds_store_b64 v4, v[5:6] offset:7680
.LBB0_17:
	s_wait_alu 0xfffe
	s_and_not1_saveexec_b32 s0, s1
	s_cbranch_execz .LBB0_19
; %bb.18:
	v_mov_b32_e32 v7, 0
	ds_load_b64 v[2:3], v7 offset:3840
	s_wait_dscnt 0x0
	v_dual_mul_f32 v6, -2.0, v3 :: v_dual_add_f32 v5, v2, v2
	v_mov_b32_e32 v2, 0
	v_mov_b32_e32 v3, 0
	ds_store_b64 v7, v[5:6] offset:3840
.LBB0_19:
	s_wait_alu 0xfffe
	s_or_b32 exec_lo, exec_lo, s0
	v_lshlrev_b64_e32 v[2:3], 3, v[2:3]
	s_add_nc_u64 s[0:1], s[8:9], 0x1d80
	v_add_nc_u32_e32 v29, 0x800, v37
	v_add_nc_u32_e32 v25, 0x1000, v37
	;; [unrolled: 1-line block ×3, first 2 shown]
	s_wait_alu 0xfffe
	v_add_co_u32 v2, s0, s0, v2
	s_wait_alu 0xf1ff
	v_add_co_ci_u32_e64 v3, s0, s1, v3, s0
	s_mov_b32 s1, exec_lo
	s_clause 0x1
	global_load_b64 v[5:6], v[2:3], off offset:1280
	global_load_b64 v[2:3], v[2:3], off offset:2560
	ds_store_b64 v37, v[0:1]
	ds_load_b64 v[0:1], v37 offset:1280
	ds_load_b64 v[7:8], v4 offset:6400
	s_wait_dscnt 0x0
	v_add_f32_e32 v9, v0, v7
	v_add_f32_e32 v10, v8, v1
	v_dual_sub_f32 v11, v0, v7 :: v_dual_sub_f32 v0, v1, v8
	s_wait_loadcnt 0x1
	s_delay_alu instid0(VALU_DEP_1) | instskip(NEXT) | instid1(VALU_DEP_2)
	v_fma_f32 v12, v11, v6, v9
	v_fma_f32 v1, v10, v6, v0
	v_fma_f32 v7, -v11, v6, v9
	v_fma_f32 v8, v10, v6, -v0
	s_delay_alu instid0(VALU_DEP_4) | instskip(NEXT) | instid1(VALU_DEP_4)
	v_fma_f32 v0, -v5, v10, v12
	v_fmac_f32_e32 v1, v11, v5
	s_delay_alu instid0(VALU_DEP_3)
	v_dual_fmac_f32 v7, v5, v10 :: v_dual_fmac_f32 v8, v11, v5
	v_add_nc_u32_e32 v12, 0x1400, v37
	ds_store_b64 v37, v[0:1] offset:1280
	ds_store_b64 v4, v[7:8] offset:6400
	ds_load_b64 v[0:1], v37 offset:2560
	ds_load_b64 v[5:6], v4 offset:5120
	s_wait_dscnt 0x0
	v_add_f32_e32 v7, v0, v5
	v_add_f32_e32 v8, v6, v1
	v_dual_sub_f32 v9, v0, v5 :: v_dual_sub_f32 v0, v1, v6
	s_wait_loadcnt 0x0
	s_delay_alu instid0(VALU_DEP_1) | instskip(NEXT) | instid1(VALU_DEP_2)
	v_fma_f32 v11, v9, v3, v7
	v_fma_f32 v1, v8, v3, v0
	v_fma_f32 v5, -v9, v3, v7
	v_fma_f32 v6, v8, v3, -v0
	v_add_nc_u32_e32 v10, 0x400, v37
	v_fma_f32 v0, -v2, v8, v11
	v_fmac_f32_e32 v1, v9, v2
	v_fmac_f32_e32 v5, v2, v8
	v_dual_fmac_f32 v6, v9, v2 :: v_dual_add_nc_u32 v7, 0xc00, v37
	ds_store_b64 v37, v[0:1] offset:2560
	ds_store_b64 v4, v[5:6] offset:5120
	global_wb scope:SCOPE_SE
	s_wait_dscnt 0x0
	s_barrier_signal -1
	s_barrier_wait -1
	global_inv scope:SCOPE_SE
	global_wb scope:SCOPE_SE
	s_barrier_signal -1
	s_barrier_wait -1
	global_inv scope:SCOPE_SE
	ds_load_2addr_b64 v[0:3], v37 offset1:60
	ds_load_2addr_b64 v[4:7], v7 offset0:96 offset1:156
	ds_load_2addr_b64 v[8:11], v10 offset0:112 offset1:172
	;; [unrolled: 1-line block ×7, first 2 shown]
	global_wb scope:SCOPE_SE
	s_wait_dscnt 0x0
	s_barrier_signal -1
	s_barrier_wait -1
	global_inv scope:SCOPE_SE
	v_dual_sub_f32 v4, v0, v4 :: v_dual_sub_f32 v5, v1, v5
	v_sub_f32_e32 v14, v10, v14
	v_dual_sub_f32 v12, v8, v12 :: v_dual_sub_f32 v13, v9, v13
	v_dual_sub_f32 v28, v19, v28 :: v_dual_sub_f32 v25, v16, v25
	v_sub_f32_e32 v26, v17, v26
	v_dual_sub_f32 v33, v29, v33 :: v_dual_sub_f32 v36, v32, v36
	v_sub_f32_e32 v34, v30, v34
	;; [unrolled: 2-line block ×3, first 2 shown]
	v_fma_f32 v0, v0, 2.0, -v4
	v_fma_f32 v8, v8, 2.0, -v12
	v_sub_f32_e32 v35, v31, v35
	v_fma_f32 v9, v9, 2.0, -v13
	v_fma_f32 v17, v17, 2.0, -v26
	v_fma_f32 v29, v29, 2.0, -v33
	v_sub_f32_e32 v8, v0, v8
	v_fma_f32 v30, v30, 2.0, -v34
	v_fma_f32 v2, v2, 2.0, -v6
	;; [unrolled: 1-line block ×4, first 2 shown]
	v_dual_add_f32 v12, v5, v12 :: v_dual_sub_f32 v15, v11, v15
	v_sub_f32_e32 v34, v25, v34
	v_fma_f32 v16, v16, 2.0, -v25
	v_add_f32_e32 v14, v7, v14
	v_fma_f32 v18, v18, 2.0, -v27
	v_sub_f32_e32 v13, v4, v13
	v_fma_f32 v1, v1, 2.0, -v5
	v_fma_f32 v3, v3, 2.0, -v7
	;; [unrolled: 1-line block ×5, first 2 shown]
	v_dual_sub_f32 v36, v27, v36 :: v_dual_add_f32 v33, v26, v33
	v_dual_sub_f32 v30, v17, v30 :: v_dual_sub_f32 v15, v6, v15
	s_delay_alu instid0(VALU_DEP_3)
	v_dual_sub_f32 v32, v19, v32 :: v_dual_add_f32 v35, v28, v35
	v_sub_f32_e32 v10, v2, v10
	v_fma_f32 v4, v4, 2.0, -v13
	v_fma_f32 v25, v25, 2.0, -v34
	v_sub_f32_e32 v29, v16, v29
	v_dual_sub_f32 v31, v18, v31 :: v_dual_sub_f32 v44, v8, v30
	v_dual_sub_f32 v9, v1, v9 :: v_dual_fmamk_f32 v38, v34, 0x3f3504f3, v13
	v_fma_f32 v5, v5, 2.0, -v12
	v_fma_f32 v26, v26, 2.0, -v33
	v_dual_sub_f32 v11, v3, v11 :: v_dual_fmamk_f32 v40, v36, 0x3f3504f3, v15
	v_fma_f32 v6, v6, 2.0, -v15
	v_fma_f32 v7, v7, 2.0, -v14
	;; [unrolled: 1-line block ×7, first 2 shown]
	v_fmamk_f32 v42, v25, 0xbf3504f3, v4
	v_fma_f32 v16, v16, 2.0, -v29
	v_fmamk_f32 v41, v35, 0x3f3504f3, v14
	v_dual_fmamk_f32 v39, v33, 0x3f3504f3, v12 :: v_dual_sub_f32 v48, v10, v32
	v_fma_f32 v1, v1, 2.0, -v9
	v_fma_f32 v17, v17, 2.0, -v30
	;; [unrolled: 1-line block ×4, first 2 shown]
	v_dual_fmamk_f32 v43, v26, 0xbf3504f3, v5 :: v_dual_fmac_f32 v38, 0xbf3504f3, v33
	v_dual_add_f32 v45, v9, v29 :: v_dual_fmamk_f32 v46, v27, 0xbf3504f3, v6
	v_dual_fmamk_f32 v47, v28, 0xbf3504f3, v7 :: v_dual_fmac_f32 v40, 0xbf3504f3, v35
	v_dual_add_f32 v49, v11, v31 :: v_dual_fmac_f32 v42, 0xbf3504f3, v26
	v_sub_f32_e32 v16, v0, v16
	v_fmac_f32_e32 v41, 0x3f3504f3, v36
	v_fma_f32 v50, v8, 2.0, -v44
	v_dual_sub_f32 v8, v2, v18 :: v_dual_sub_f32 v17, v1, v17
	v_fmac_f32_e32 v46, 0xbf3504f3, v28
	v_fmac_f32_e32 v39, 0x3f3504f3, v34
	v_fma_f32 v51, v9, 2.0, -v45
	v_dual_sub_f32 v9, v3, v19 :: v_dual_fmamk_f32 v26, v49, 0x3f3504f3, v45
	v_fmac_f32_e32 v43, 0x3f3504f3, v25
	v_fma_f32 v0, v0, 2.0, -v16
	v_fma_f32 v2, v2, 2.0, -v8
	v_fmac_f32_e32 v47, 0x3f3504f3, v27
	v_fma_f32 v52, v13, 2.0, -v38
	v_fma_f32 v10, v10, 2.0, -v48
	;; [unrolled: 1-line block ×5, first 2 shown]
	v_sub_f32_e32 v4, v0, v2
	v_fma_f32 v18, v6, 2.0, -v46
	v_fma_f32 v19, v7, 2.0, -v47
	v_add_f32_e32 v30, v17, v8
	v_fma_f32 v53, v12, 2.0, -v39
	v_fma_f32 v12, v15, 2.0, -v40
	v_fmac_f32_e32 v26, 0x3f3504f3, v48
	v_fma_f32 v55, v5, 2.0, -v43
	v_fmamk_f32 v25, v48, 0x3f3504f3, v44
	v_dual_fmamk_f32 v27, v40, 0x3f6c835e, v38 :: v_dual_fmamk_f32 v28, v41, 0x3f6c835e, v39
	v_fma_f32 v1, v1, 2.0, -v17
	v_fma_f32 v3, v3, 2.0, -v9
	v_dual_fmamk_f32 v31, v10, 0xbf3504f3, v50 :: v_dual_fmamk_f32 v32, v11, 0xbf3504f3, v51
	v_dual_fmamk_f32 v35, v12, 0xbec3ef15, v52 :: v_dual_fmamk_f32 v36, v13, 0xbec3ef15, v53
	v_dual_sub_f32 v29, v16, v9 :: v_dual_fmamk_f32 v34, v47, 0x3ec3ef15, v43
	v_fmamk_f32 v33, v46, 0x3ec3ef15, v42
	v_dual_fmamk_f32 v6, v18, 0xbf6c835e, v54 :: v_dual_fmamk_f32 v7, v19, 0xbf6c835e, v55
	v_fmac_f32_e32 v25, 0xbf3504f3, v49
	v_fmac_f32_e32 v27, 0xbec3ef15, v41
	v_dual_fmac_f32 v28, 0x3ec3ef15, v40 :: v_dual_sub_f32 v5, v1, v3
	v_fmac_f32_e32 v31, 0xbf3504f3, v11
	v_fmac_f32_e32 v32, 0x3f3504f3, v10
	;; [unrolled: 1-line block ×8, first 2 shown]
	v_fma_f32 v8, v16, 2.0, -v29
	v_fma_f32 v9, v17, 2.0, -v30
	;; [unrolled: 1-line block ×16, first 2 shown]
	v_cmpx_gt_u32_e32 60, v24
	s_cbranch_execz .LBB0_21
; %bb.20:
	v_mad_u32_u24 v38, 0x78, v24, v37
	ds_store_2addr_b64 v38, v[0:1], v[2:3] offset1:1
	ds_store_2addr_b64 v38, v[16:17], v[18:19] offset0:2 offset1:3
	ds_store_2addr_b64 v38, v[8:9], v[10:11] offset0:4 offset1:5
	;; [unrolled: 1-line block ×7, first 2 shown]
.LBB0_21:
	s_wait_alu 0xfffe
	s_or_b32 exec_lo, exec_lo, s1
	v_cmp_gt_u32_e64 s0, 0x60, v24
	global_wb scope:SCOPE_SE
	s_wait_dscnt 0x0
	s_barrier_signal -1
	s_barrier_wait -1
	global_inv scope:SCOPE_SE
	s_and_saveexec_b32 s1, s0
	s_cbranch_execz .LBB0_23
; %bb.22:
	v_add_nc_u32_e32 v4, 0x400, v37
	v_add_nc_u32_e32 v5, 0x800, v37
	;; [unrolled: 1-line block ×4, first 2 shown]
	ds_load_2addr_b64 v[0:3], v37 offset1:96
	ds_load_2addr_b64 v[16:19], v4 offset0:64 offset1:160
	ds_load_2addr_b64 v[8:11], v5 offset0:128 offset1:224
	;; [unrolled: 1-line block ×3, first 2 shown]
	ds_load_2addr_b64 v[4:7], v7 offset1:96
.LBB0_23:
	s_wait_alu 0xfffe
	s_or_b32 exec_lo, exec_lo, s1
	global_wb scope:SCOPE_SE
	s_wait_dscnt 0x0
	s_barrier_signal -1
	s_barrier_wait -1
	global_inv scope:SCOPE_SE
	s_and_saveexec_b32 s1, s0
	s_cbranch_execz .LBB0_25
; %bb.24:
	v_and_b32_e32 v44, 15, v24
	v_lshrrev_b32_e32 v45, 4, v24
	s_delay_alu instid0(VALU_DEP_2) | instskip(NEXT) | instid1(VALU_DEP_2)
	v_mul_u32_u24_e32 v25, 9, v44
	v_mul_u32_u24_e32 v45, 0xa0, v45
	s_delay_alu instid0(VALU_DEP_2)
	v_lshlrev_b32_e32 v42, 3, v25
	s_clause 0x4
	global_load_b128 v[25:28], v42, s[8:9]
	global_load_b128 v[29:32], v42, s[8:9] offset:16
	global_load_b128 v[33:36], v42, s[8:9] offset:48
	;; [unrolled: 1-line block ×3, first 2 shown]
	global_load_b64 v[42:43], v42, s[8:9] offset:64
	s_wait_loadcnt 0x3
	v_dual_mul_f32 v53, v3, v26 :: v_dual_mul_f32 v46, v8, v32
	v_mul_f32_e32 v49, v19, v30
	s_wait_loadcnt 0x1
	v_dual_mul_f32 v47, v4, v36 :: v_dual_mul_f32 v50, v11, v39
	s_wait_loadcnt 0x0
	v_dual_mul_f32 v48, v12, v41 :: v_dual_mul_f32 v51, v7, v43
	v_mul_f32_e32 v32, v9, v32
	v_mul_f32_e32 v41, v13, v41
	v_dual_mul_f32 v36, v5, v36 :: v_dual_mul_f32 v39, v10, v39
	v_or_b32_e32 v44, v45, v44
	v_mul_f32_e32 v45, v16, v28
	v_dual_mul_f32 v28, v17, v28 :: v_dual_mul_f32 v43, v6, v43
	v_mul_f32_e32 v52, v15, v34
	v_dual_mul_f32 v30, v18, v30 :: v_dual_fmac_f32 v47, v5, v35
	v_dual_fmac_f32 v48, v13, v40 :: v_dual_fmac_f32 v39, v11, v38
	v_mul_f32_e32 v34, v14, v34
	v_fma_f32 v5, v8, v31, -v32
	v_fma_f32 v8, v12, v40, -v41
	v_dual_mul_f32 v26, v2, v26 :: v_dual_fmac_f32 v45, v17, v27
	v_dual_fmac_f32 v46, v9, v31 :: v_dual_fmac_f32 v43, v7, v42
	v_fma_f32 v9, v16, v27, -v28
	v_fma_f32 v4, v4, v35, -v36
	;; [unrolled: 1-line block ×6, first 2 shown]
	v_fmac_f32_e32 v30, v19, v29
	v_sub_f32_e32 v7, v47, v48
	v_dual_fmac_f32 v34, v15, v33 :: v_dual_add_f32 v15, v46, v48
	v_dual_sub_f32 v11, v5, v8 :: v_dual_fmac_f32 v26, v3, v25
	v_fma_f32 v2, v2, v25, -v53
	v_sub_f32_e32 v3, v45, v46
	v_dual_sub_f32 v19, v30, v43 :: v_dual_sub_f32 v14, v9, v4
	v_dual_sub_f32 v17, v6, v13 :: v_dual_sub_f32 v16, v12, v10
	v_sub_f32_e32 v27, v30, v39
	v_dual_add_f32 v18, v10, v13 :: v_dual_sub_f32 v25, v39, v34
	v_dual_sub_f32 v28, v43, v34 :: v_dual_sub_f32 v29, v10, v13
	v_dual_sub_f32 v31, v12, v6 :: v_dual_add_f32 v36, v45, v47
	v_dual_add_f32 v32, v39, v34 :: v_dual_sub_f32 v33, v46, v45
	v_dual_sub_f32 v35, v48, v47 :: v_dual_sub_f32 v38, v10, v12
	v_dual_add_f32 v41, v12, v6 :: v_dual_add_f32 v50, v30, v43
	v_dual_sub_f32 v42, v39, v30 :: v_dual_add_f32 v51, v1, v45
	v_dual_add_f32 v30, v26, v30 :: v_dual_sub_f32 v53, v4, v8
	v_add_f32_e32 v54, v5, v8
	v_dual_sub_f32 v40, v13, v6 :: v_dual_sub_f32 v49, v34, v43
	v_dual_sub_f32 v52, v9, v5 :: v_dual_sub_f32 v55, v46, v48
	v_dual_sub_f32 v45, v45, v47 :: v_dual_add_f32 v12, v2, v12
	v_dual_sub_f32 v56, v5, v9 :: v_dual_sub_f32 v57, v8, v4
	v_dual_add_f32 v58, v9, v4 :: v_dual_add_f32 v3, v3, v7
	v_add_f32_e32 v9, v0, v9
	v_fma_f32 v59, -0.5, v15, v1
	v_dual_add_f32 v7, v16, v17 :: v_dual_add_f32 v16, v27, v28
	v_fma_f32 v15, -0.5, v18, v2
	v_fma_f32 v17, -0.5, v32, v26
	v_add_f32_e32 v18, v33, v35
	v_fma_f32 v27, -0.5, v36, v1
	v_add_f32_e32 v1, v38, v40
	v_fma_f32 v28, -0.5, v41, v2
	v_fma_f32 v26, -0.5, v50, v26
	v_add_f32_e32 v30, v30, v39
	v_fma_f32 v35, -0.5, v54, v0
	v_add_f32_e32 v2, v42, v49
	v_dual_add_f32 v32, v51, v46 :: v_dual_add_f32 v33, v52, v53
	v_dual_add_f32 v36, v56, v57 :: v_dual_fmamk_f32 v39, v11, 0xbf737871, v27
	v_fma_f32 v38, -0.5, v58, v0
	v_dual_add_f32 v0, v9, v5 :: v_dual_fmac_f32 v27, 0x3f737871, v11
	v_dual_add_f32 v5, v12, v10 :: v_dual_fmamk_f32 v10, v14, 0x3f737871, v59
	v_fmamk_f32 v9, v19, 0xbf737871, v15
	v_dual_fmamk_f32 v40, v25, 0x3f737871, v28 :: v_dual_fmac_f32 v15, 0x3f737871, v19
	v_dual_fmamk_f32 v41, v29, 0xbf737871, v26 :: v_dual_add_f32 v32, v32, v48
	v_dual_fmac_f32 v28, 0xbf737871, v25 :: v_dual_fmac_f32 v59, 0xbf737871, v14
	v_add_f32_e32 v30, v30, v34
	v_fmamk_f32 v34, v45, 0xbf737871, v35
	v_fmac_f32_e32 v35, 0x3f737871, v45
	v_fmamk_f32 v12, v31, 0x3f737871, v17
	v_dual_fmac_f32 v17, 0xbf737871, v31 :: v_dual_add_f32 v0, v0, v8
	v_add_f32_e32 v5, v5, v13
	v_fmac_f32_e32 v26, 0x3f737871, v29
	v_dual_fmac_f32 v10, 0x3f167918, v11 :: v_dual_fmac_f32 v39, 0x3f167918, v14
	v_fmac_f32_e32 v41, 0x3f167918, v31
	v_dual_fmac_f32 v28, 0x3f167918, v19 :: v_dual_fmac_f32 v15, 0x3f167918, v25
	v_fmac_f32_e32 v59, 0xbf167918, v11
	v_dual_fmac_f32 v17, 0xbf167918, v29 :: v_dual_add_f32 v8, v32, v47
	v_dual_add_f32 v11, v30, v43 :: v_dual_fmac_f32 v12, 0x3f167918, v29
	v_dual_fmac_f32 v9, 0xbf167918, v25 :: v_dual_fmac_f32 v40, 0xbf167918, v19
	v_dual_add_f32 v4, v0, v4 :: v_dual_add_f32 v5, v5, v6
	v_dual_fmac_f32 v27, 0xbf167918, v14 :: v_dual_fmac_f32 v26, 0xbf167918, v31
	s_delay_alu instid0(VALU_DEP_4) | instskip(SKIP_2) | instid1(VALU_DEP_4)
	v_dual_fmac_f32 v12, 0x3e9e377a, v16 :: v_dual_fmac_f32 v41, 0x3e9e377a, v2
	v_dual_fmac_f32 v28, 0x3e9e377a, v1 :: v_dual_fmac_f32 v17, 0x3e9e377a, v16
	;; [unrolled: 1-line block ×3, first 2 shown]
	v_fmac_f32_e32 v27, 0x3e9e377a, v18
	v_dual_fmac_f32 v26, 0x3e9e377a, v2 :: v_dual_fmac_f32 v59, 0x3e9e377a, v3
	v_add_f32_e32 v2, v4, v5
	v_mul_f32_e32 v25, 0x3f167918, v17
	v_sub_f32_e32 v0, v4, v5
	v_mul_f32_e32 v4, 0x3f4f1bbd, v12
	v_mul_f32_e32 v5, 0x3e9e377a, v41
	v_fmamk_f32 v42, v55, 0x3f737871, v38
	v_dual_fmac_f32 v10, 0x3e9e377a, v3 :: v_dual_fmac_f32 v39, 0x3e9e377a, v18
	v_sub_f32_e32 v1, v8, v11
	v_dual_add_f32 v3, v8, v11 :: v_dual_mul_f32 v8, 0x3e9e377a, v40
	v_fma_f32 v18, 0xbf737871, v40, -v5
	v_fmac_f32_e32 v34, 0xbf167918, v55
	v_fmac_f32_e32 v15, 0x3e9e377a, v7
	v_mul_f32_e32 v7, 0x3f4f1bbd, v9
	v_fma_f32 v13, 0xbf167918, v9, -v4
	v_fmac_f32_e32 v38, 0xbf737871, v55
	v_mul_f32_e32 v6, 0xbf737871, v28
	v_fmac_f32_e32 v42, 0xbf167918, v45
	v_fmac_f32_e32 v35, 0x3f167918, v55
	v_fma_f32 v12, 0x3f167918, v12, -v7
	v_sub_f32_e32 v5, v10, v13
	v_add_f32_e32 v13, v10, v13
	v_dual_fmac_f32 v38, 0x3f167918, v45 :: v_dual_sub_f32 v7, v39, v18
	v_fmac_f32_e32 v34, 0x3e9e377a, v33
	v_mul_f32_e32 v14, 0xbf167918, v15
	v_mul_f32_e32 v16, 0x3f737871, v26
	v_fmac_f32_e32 v6, 0x3e9e377a, v26
	v_dual_fmac_f32 v42, 0x3e9e377a, v36 :: v_dual_fmac_f32 v35, 0x3e9e377a, v33
	v_dual_sub_f32 v4, v34, v12 :: v_dual_fmac_f32 v25, 0x3f4f1bbd, v15
	v_dual_add_f32 v15, v39, v18 :: v_dual_fmac_f32 v14, 0x3f4f1bbd, v17
	s_delay_alu instid0(VALU_DEP_4) | instskip(SKIP_2) | instid1(VALU_DEP_4)
	v_dual_add_f32 v17, v27, v6 :: v_dual_fmac_f32 v38, 0x3e9e377a, v36
	v_sub_f32_e32 v9, v27, v6
	v_fma_f32 v26, 0x3f737871, v41, -v8
	v_dual_fmac_f32 v16, 0x3e9e377a, v28 :: v_dual_add_f32 v19, v59, v14
	v_lshl_add_u32 v44, v44, 3, 0
	v_add_f32_e32 v18, v35, v25
	s_delay_alu instid0(VALU_DEP_3)
	v_dual_sub_f32 v11, v59, v14 :: v_dual_sub_f32 v8, v38, v16
	v_add_f32_e32 v14, v42, v26
	v_add_f32_e32 v16, v38, v16
	;; [unrolled: 1-line block ×3, first 2 shown]
	v_sub_f32_e32 v10, v35, v25
	v_sub_f32_e32 v6, v42, v26
	ds_store_2addr_b64 v44, v[2:3], v[18:19] offset1:16
	ds_store_2addr_b64 v44, v[16:17], v[14:15] offset0:32 offset1:48
	ds_store_2addr_b64 v44, v[12:13], v[0:1] offset0:64 offset1:80
	;; [unrolled: 1-line block ×4, first 2 shown]
.LBB0_25:
	s_wait_alu 0xfffe
	s_or_b32 exec_lo, exec_lo, s1
	v_mul_u32_u24_e32 v0, 5, v24
	global_wb scope:SCOPE_SE
	s_wait_dscnt 0x0
	s_barrier_signal -1
	s_barrier_wait -1
	global_inv scope:SCOPE_SE
	v_lshlrev_b32_e32 v8, 3, v0
	s_clause 0x2
	global_load_b128 v[0:3], v8, s[8:9] offset:1152
	global_load_b128 v[4:7], v8, s[8:9] offset:1168
	global_load_b64 v[25:26], v8, s[8:9] offset:1184
	ds_load_2addr_b64 v[8:11], v37 offset1:160
	v_add_nc_u32_e32 v27, 0x800, v37
	v_add_nc_u32_e32 v28, 0x1400, v37
	s_wait_loadcnt_dscnt 0x200
	v_mul_f32_e32 v30, v1, v10
	ds_load_2addr_b64 v[12:15], v27 offset0:64 offset1:224
	ds_load_2addr_b64 v[16:19], v28 offset1:160
	v_mul_f32_e32 v29, v1, v11
	global_wb scope:SCOPE_SE
	s_wait_loadcnt_dscnt 0x0
	s_barrier_signal -1
	s_barrier_wait -1
	global_inv scope:SCOPE_SE
	v_fma_f32 v10, v0, v10, -v29
	v_dual_fmac_f32 v30, v0, v11 :: v_dual_mul_f32 v1, v3, v13
	v_mul_f32_e32 v3, v3, v12
	v_dual_mul_f32 v31, v5, v15 :: v_dual_mul_f32 v32, v7, v17
	v_mul_f32_e32 v5, v5, v14
	v_mul_f32_e32 v33, v26, v19
	v_dual_mul_f32 v26, v26, v18 :: v_dual_mul_f32 v7, v7, v16
	v_fma_f32 v0, v2, v12, -v1
	v_fmac_f32_e32 v3, v2, v13
	v_fma_f32 v1, v4, v14, -v31
	v_fmac_f32_e32 v5, v4, v15
	;; [unrolled: 2-line block ×3, first 2 shown]
	s_delay_alu instid0(VALU_DEP_4) | instskip(SKIP_1) | instid1(VALU_DEP_3)
	v_add_f32_e32 v14, v10, v1
	v_dual_fmac_f32 v7, v6, v17 :: v_dual_add_f32 v6, v8, v0
	v_sub_f32_e32 v16, v5, v26
	v_fma_f32 v4, v25, v18, -v33
	v_add_f32_e32 v11, v0, v2
	v_sub_f32_e32 v0, v0, v2
	v_sub_f32_e32 v12, v3, v7
	v_dual_add_f32 v13, v9, v3 :: v_dual_add_f32 v2, v6, v2
	v_add_f32_e32 v17, v30, v5
	v_add_f32_e32 v5, v5, v26
	;; [unrolled: 1-line block ×3, first 2 shown]
	s_delay_alu instid0(VALU_DEP_4) | instskip(SKIP_4) | instid1(VALU_DEP_4)
	v_add_f32_e32 v6, v13, v7
	v_add_f32_e32 v3, v3, v7
	v_fma_f32 v11, -0.5, v11, v8
	v_dual_sub_f32 v1, v1, v4 :: v_dual_fmac_f32 v30, -0.5, v5
	v_fmac_f32_e32 v10, -0.5, v15
	v_fma_f32 v13, -0.5, v3, v9
	s_delay_alu instid0(VALU_DEP_4) | instskip(NEXT) | instid1(VALU_DEP_4)
	v_dual_fmamk_f32 v8, v12, 0x3f5db3d7, v11 :: v_dual_add_f32 v3, v14, v4
	v_fmamk_f32 v7, v1, 0xbf5db3d7, v30
	s_delay_alu instid0(VALU_DEP_4) | instskip(NEXT) | instid1(VALU_DEP_4)
	v_fmamk_f32 v5, v16, 0x3f5db3d7, v10
	v_dual_fmamk_f32 v9, v0, 0xbf5db3d7, v13 :: v_dual_fmac_f32 v10, 0xbf5db3d7, v16
	v_fmac_f32_e32 v30, 0x3f5db3d7, v1
	v_dual_add_f32 v4, v17, v26 :: v_dual_fmac_f32 v11, 0xbf5db3d7, v12
	s_delay_alu instid0(VALU_DEP_3) | instskip(NEXT) | instid1(VALU_DEP_3)
	v_dual_mul_f32 v14, -0.5, v10 :: v_dual_mul_f32 v15, 0xbf5db3d7, v5
	v_dual_mul_f32 v16, -0.5, v30 :: v_dual_fmac_f32 v13, 0x3f5db3d7, v0
	v_mul_f32_e32 v12, 0x3f5db3d7, v7
	v_add_f32_e32 v0, v2, v3
	v_add_f32_e32 v1, v6, v4
	v_sub_f32_e32 v2, v2, v3
	v_dual_fmac_f32 v14, 0x3f5db3d7, v30 :: v_dual_fmac_f32 v15, 0.5, v7
	v_fmac_f32_e32 v12, 0.5, v5
	v_dual_fmac_f32 v16, 0xbf5db3d7, v10 :: v_dual_sub_f32 v3, v6, v4
	s_delay_alu instid0(VALU_DEP_3) | instskip(NEXT) | instid1(VALU_DEP_3)
	v_dual_add_f32 v6, v11, v14 :: v_dual_add_f32 v5, v9, v15
	v_add_f32_e32 v4, v8, v12
	s_delay_alu instid0(VALU_DEP_3)
	v_add_f32_e32 v7, v13, v16
	v_dual_sub_f32 v8, v8, v12 :: v_dual_sub_f32 v9, v9, v15
	v_dual_sub_f32 v10, v11, v14 :: v_dual_sub_f32 v11, v13, v16
	ds_store_2addr_b64 v37, v[0:1], v[4:5] offset1:160
	ds_store_2addr_b64 v27, v[6:7], v[2:3] offset0:64 offset1:224
	ds_store_2addr_b64 v28, v[8:9], v[10:11] offset1:160
	global_wb scope:SCOPE_SE
	s_wait_dscnt 0x0
	s_barrier_signal -1
	s_barrier_wait -1
	global_inv scope:SCOPE_SE
	s_and_saveexec_b32 s0, vcc_lo
	s_cbranch_execz .LBB0_27
; %bb.26:
	v_mul_lo_u32 v2, s3, v22
	v_mul_lo_u32 v3, s2, v23
	v_mad_co_u64_u32 v[0:1], null, s2, v22, 0
	v_dual_mov_b32 v25, 0 :: v_dual_add_nc_u32 v6, 0xa0, v24
	v_lshlrev_b64_e32 v[4:5], 3, v[20:21]
	v_add_nc_u32_e32 v8, 0x140, v24
	v_lshl_add_u32 v22, v24, 3, 0
	s_delay_alu instid0(VALU_DEP_4) | instskip(SKIP_4) | instid1(VALU_DEP_4)
	v_mov_b32_e32 v7, v25
	v_add3_u32 v1, v1, v3, v2
	v_lshlrev_b64_e32 v[13:14], 3, v[24:25]
	v_dual_mov_b32 v9, v25 :: v_dual_add_nc_u32 v10, 0x1e0, v24
	v_add_nc_u32_e32 v16, 0x800, v22
	v_lshlrev_b64_e32 v[11:12], 3, v[0:1]
	ds_load_2addr_b64 v[0:3], v22 offset1:160
	v_dual_mov_b32 v19, v25 :: v_dual_add_nc_u32 v18, 0x280, v24
	v_lshlrev_b64_e32 v[8:9], 3, v[8:9]
	v_add_nc_u32_e32 v24, 0x320, v24
	v_add_co_u32 v11, vcc_lo, s6, v11
	s_wait_alu 0xfffd
	v_add_co_ci_u32_e32 v12, vcc_lo, s7, v12, vcc_lo
	v_lshlrev_b64_e32 v[18:19], 3, v[18:19]
	s_delay_alu instid0(VALU_DEP_3) | instskip(SKIP_1) | instid1(VALU_DEP_3)
	v_add_co_u32 v26, vcc_lo, v11, v4
	s_wait_alu 0xfffd
	v_add_co_ci_u32_e32 v27, vcc_lo, v12, v5, vcc_lo
	v_lshlrev_b64_e32 v[4:5], 3, v[6:7]
	s_delay_alu instid0(VALU_DEP_3) | instskip(SKIP_3) | instid1(VALU_DEP_4)
	v_add_co_u32 v12, vcc_lo, v26, v13
	v_mov_b32_e32 v11, v25
	s_wait_alu 0xfffd
	v_add_co_ci_u32_e32 v13, vcc_lo, v27, v14, vcc_lo
	v_add_co_u32 v14, vcc_lo, v26, v4
	s_wait_alu 0xfffd
	v_add_co_ci_u32_e32 v15, vcc_lo, v27, v5, vcc_lo
	ds_load_2addr_b64 v[4:7], v16 offset0:64 offset1:224
	v_lshlrev_b64_e32 v[16:17], 3, v[10:11]
	v_add_nc_u32_e32 v10, 0x1400, v22
	v_add_co_u32 v20, vcc_lo, v26, v8
	s_wait_alu 0xfffd
	v_add_co_ci_u32_e32 v21, vcc_lo, v27, v9, vcc_lo
	ds_load_2addr_b64 v[8:11], v10 offset1:160
	v_add_co_u32 v16, vcc_lo, v26, v16
	v_lshlrev_b64_e32 v[22:23], 3, v[24:25]
	s_wait_alu 0xfffd
	v_add_co_ci_u32_e32 v17, vcc_lo, v27, v17, vcc_lo
	v_add_co_u32 v18, vcc_lo, v26, v18
	s_wait_alu 0xfffd
	v_add_co_ci_u32_e32 v19, vcc_lo, v27, v19, vcc_lo
	v_add_co_u32 v22, vcc_lo, v26, v22
	s_wait_alu 0xfffd
	v_add_co_ci_u32_e32 v23, vcc_lo, v27, v23, vcc_lo
	s_wait_dscnt 0x2
	s_clause 0x1
	global_store_b64 v[12:13], v[0:1], off
	global_store_b64 v[14:15], v[2:3], off
	s_wait_dscnt 0x1
	s_clause 0x1
	global_store_b64 v[20:21], v[4:5], off
	global_store_b64 v[16:17], v[6:7], off
	;; [unrolled: 4-line block ×3, first 2 shown]
.LBB0_27:
	s_nop 0
	s_sendmsg sendmsg(MSG_DEALLOC_VGPRS)
	s_endpgm
	.section	.rodata,"a",@progbits
	.p2align	6, 0x0
	.amdhsa_kernel fft_rtc_fwd_len960_factors_16_10_6_wgs_160_tpt_160_sp_op_CI_CI_unitstride_sbrr_C2R_dirReg
		.amdhsa_group_segment_fixed_size 0
		.amdhsa_private_segment_fixed_size 0
		.amdhsa_kernarg_size 104
		.amdhsa_user_sgpr_count 2
		.amdhsa_user_sgpr_dispatch_ptr 0
		.amdhsa_user_sgpr_queue_ptr 0
		.amdhsa_user_sgpr_kernarg_segment_ptr 1
		.amdhsa_user_sgpr_dispatch_id 0
		.amdhsa_user_sgpr_private_segment_size 0
		.amdhsa_wavefront_size32 1
		.amdhsa_uses_dynamic_stack 0
		.amdhsa_enable_private_segment 0
		.amdhsa_system_sgpr_workgroup_id_x 1
		.amdhsa_system_sgpr_workgroup_id_y 0
		.amdhsa_system_sgpr_workgroup_id_z 0
		.amdhsa_system_sgpr_workgroup_info 0
		.amdhsa_system_vgpr_workitem_id 0
		.amdhsa_next_free_vgpr 60
		.amdhsa_next_free_sgpr 39
		.amdhsa_reserve_vcc 1
		.amdhsa_float_round_mode_32 0
		.amdhsa_float_round_mode_16_64 0
		.amdhsa_float_denorm_mode_32 3
		.amdhsa_float_denorm_mode_16_64 3
		.amdhsa_fp16_overflow 0
		.amdhsa_workgroup_processor_mode 1
		.amdhsa_memory_ordered 1
		.amdhsa_forward_progress 0
		.amdhsa_round_robin_scheduling 0
		.amdhsa_exception_fp_ieee_invalid_op 0
		.amdhsa_exception_fp_denorm_src 0
		.amdhsa_exception_fp_ieee_div_zero 0
		.amdhsa_exception_fp_ieee_overflow 0
		.amdhsa_exception_fp_ieee_underflow 0
		.amdhsa_exception_fp_ieee_inexact 0
		.amdhsa_exception_int_div_zero 0
	.end_amdhsa_kernel
	.text
.Lfunc_end0:
	.size	fft_rtc_fwd_len960_factors_16_10_6_wgs_160_tpt_160_sp_op_CI_CI_unitstride_sbrr_C2R_dirReg, .Lfunc_end0-fft_rtc_fwd_len960_factors_16_10_6_wgs_160_tpt_160_sp_op_CI_CI_unitstride_sbrr_C2R_dirReg
                                        ; -- End function
	.section	.AMDGPU.csdata,"",@progbits
; Kernel info:
; codeLenInByte = 6036
; NumSgprs: 41
; NumVgprs: 60
; ScratchSize: 0
; MemoryBound: 0
; FloatMode: 240
; IeeeMode: 1
; LDSByteSize: 0 bytes/workgroup (compile time only)
; SGPRBlocks: 5
; VGPRBlocks: 7
; NumSGPRsForWavesPerEU: 41
; NumVGPRsForWavesPerEU: 60
; Occupancy: 15
; WaveLimiterHint : 1
; COMPUTE_PGM_RSRC2:SCRATCH_EN: 0
; COMPUTE_PGM_RSRC2:USER_SGPR: 2
; COMPUTE_PGM_RSRC2:TRAP_HANDLER: 0
; COMPUTE_PGM_RSRC2:TGID_X_EN: 1
; COMPUTE_PGM_RSRC2:TGID_Y_EN: 0
; COMPUTE_PGM_RSRC2:TGID_Z_EN: 0
; COMPUTE_PGM_RSRC2:TIDIG_COMP_CNT: 0
	.text
	.p2alignl 7, 3214868480
	.fill 96, 4, 3214868480
	.type	__hip_cuid_7444b89a57d65ba5,@object ; @__hip_cuid_7444b89a57d65ba5
	.section	.bss,"aw",@nobits
	.globl	__hip_cuid_7444b89a57d65ba5
__hip_cuid_7444b89a57d65ba5:
	.byte	0                               ; 0x0
	.size	__hip_cuid_7444b89a57d65ba5, 1

	.ident	"AMD clang version 19.0.0git (https://github.com/RadeonOpenCompute/llvm-project roc-6.4.0 25133 c7fe45cf4b819c5991fe208aaa96edf142730f1d)"
	.section	".note.GNU-stack","",@progbits
	.addrsig
	.addrsig_sym __hip_cuid_7444b89a57d65ba5
	.amdgpu_metadata
---
amdhsa.kernels:
  - .args:
      - .actual_access:  read_only
        .address_space:  global
        .offset:         0
        .size:           8
        .value_kind:     global_buffer
      - .offset:         8
        .size:           8
        .value_kind:     by_value
      - .actual_access:  read_only
        .address_space:  global
        .offset:         16
        .size:           8
        .value_kind:     global_buffer
      - .actual_access:  read_only
        .address_space:  global
        .offset:         24
        .size:           8
        .value_kind:     global_buffer
      - .actual_access:  read_only
        .address_space:  global
        .offset:         32
        .size:           8
        .value_kind:     global_buffer
      - .offset:         40
        .size:           8
        .value_kind:     by_value
      - .actual_access:  read_only
        .address_space:  global
        .offset:         48
        .size:           8
        .value_kind:     global_buffer
      - .actual_access:  read_only
        .address_space:  global
        .offset:         56
        .size:           8
        .value_kind:     global_buffer
      - .offset:         64
        .size:           4
        .value_kind:     by_value
      - .actual_access:  read_only
        .address_space:  global
        .offset:         72
        .size:           8
        .value_kind:     global_buffer
      - .actual_access:  read_only
        .address_space:  global
        .offset:         80
        .size:           8
        .value_kind:     global_buffer
      - .actual_access:  read_only
        .address_space:  global
        .offset:         88
        .size:           8
        .value_kind:     global_buffer
      - .actual_access:  write_only
        .address_space:  global
        .offset:         96
        .size:           8
        .value_kind:     global_buffer
    .group_segment_fixed_size: 0
    .kernarg_segment_align: 8
    .kernarg_segment_size: 104
    .language:       OpenCL C
    .language_version:
      - 2
      - 0
    .max_flat_workgroup_size: 160
    .name:           fft_rtc_fwd_len960_factors_16_10_6_wgs_160_tpt_160_sp_op_CI_CI_unitstride_sbrr_C2R_dirReg
    .private_segment_fixed_size: 0
    .sgpr_count:     41
    .sgpr_spill_count: 0
    .symbol:         fft_rtc_fwd_len960_factors_16_10_6_wgs_160_tpt_160_sp_op_CI_CI_unitstride_sbrr_C2R_dirReg.kd
    .uniform_work_group_size: 1
    .uses_dynamic_stack: false
    .vgpr_count:     60
    .vgpr_spill_count: 0
    .wavefront_size: 32
    .workgroup_processor_mode: 1
amdhsa.target:   amdgcn-amd-amdhsa--gfx1201
amdhsa.version:
  - 1
  - 2
...

	.end_amdgpu_metadata
